;; amdgpu-corpus repo=amd/amd-lab-notes kind=compiled arch=gfx1100 opt=O3
	.text
	.amdgcn_target "amdgcn-amd-amdhsa--gfx1100"
	.amdhsa_code_object_version 6
	.section	.text._Z17vector_csr_kernelILi2EEviPKiS1_PKdS3_Pddd,"axG",@progbits,_Z17vector_csr_kernelILi2EEviPKiS1_PKdS3_Pddd,comdat
	.protected	_Z17vector_csr_kernelILi2EEviPKiS1_PKdS3_Pddd ; -- Begin function _Z17vector_csr_kernelILi2EEviPKiS1_PKdS3_Pddd
	.globl	_Z17vector_csr_kernelILi2EEviPKiS1_PKdS3_Pddd
	.p2align	8
	.type	_Z17vector_csr_kernelILi2EEviPKiS1_PKdS3_Pddd,@function
_Z17vector_csr_kernelILi2EEviPKiS1_PKdS3_Pddd: ; @_Z17vector_csr_kernelILi2EEviPKiS1_PKdS3_Pddd
; %bb.0:
	s_clause 0x1
	s_load_b32 s2, s[0:1], 0x4c
	s_load_b32 s3, s[0:1], 0x0
	v_bfe_u32 v3, v0, 10, 10
	s_waitcnt lgkmcnt(0)
	s_lshr_b32 s2, s2, 16
	s_delay_alu instid0(VALU_DEP_1) | instid1(SALU_CYCLE_1)
	v_mad_u64_u32 v[1:2], null, s15, s2, v[3:4]
	s_mov_b32 s2, exec_lo
	s_delay_alu instid0(VALU_DEP_1)
	v_cmpx_gt_i32_e64 s3, v1
	s_cbranch_execz .LBB0_9
; %bb.1:
	s_clause 0x1
	s_load_b64 s[2:3], s[0:1], 0x8
	s_load_b64 s[4:5], s[0:1], 0x28
	v_ashrrev_i32_e32 v2, 31, v1
	v_and_b32_e32 v0, 0x3ff, v0
	s_delay_alu instid0(VALU_DEP_2) | instskip(SKIP_1) | instid1(VALU_DEP_1)
	v_lshlrev_b64 v[3:4], 2, v[1:2]
	s_waitcnt lgkmcnt(0)
	v_add_co_u32 v3, vcc_lo, s2, v3
	s_delay_alu instid0(VALU_DEP_2)
	v_add_co_ci_u32_e32 v4, vcc_lo, s3, v4, vcc_lo
	s_mov_b32 s3, exec_lo
	global_load_b64 v[4:5], v[3:4], off
	s_waitcnt vmcnt(0)
	v_dual_mov_b32 v3, 0 :: v_dual_add_nc_u32 v6, v4, v0
	v_mov_b32_e32 v4, 0
	s_delay_alu instid0(VALU_DEP_2)
	v_cmpx_lt_i32_e64 v6, v5
	s_cbranch_execz .LBB0_5
; %bb.2:
	s_clause 0x1
	s_load_b128 s[8:11], s[0:1], 0x10
	s_load_b64 s[6:7], s[0:1], 0x20
	v_ashrrev_i32_e32 v7, 31, v6
	v_mov_b32_e32 v3, 0
	v_mov_b32_e32 v4, 0
	s_delay_alu instid0(VALU_DEP_3) | instskip(SKIP_2) | instid1(VALU_DEP_2)
	v_lshlrev_b64 v[8:9], 3, v[6:7]
	v_lshlrev_b64 v[10:11], 2, v[6:7]
	s_waitcnt lgkmcnt(0)
	v_add_co_u32 v7, vcc_lo, s10, v8
	s_delay_alu instid0(VALU_DEP_3) | instskip(NEXT) | instid1(VALU_DEP_3)
	v_add_co_ci_u32_e32 v8, vcc_lo, s11, v9, vcc_lo
	v_add_co_u32 v9, vcc_lo, s8, v10
	s_delay_alu instid0(VALU_DEP_4)
	v_add_co_ci_u32_e32 v10, vcc_lo, s9, v11, vcc_lo
	s_mov_b32 s8, 0
	.p2align	6
.LBB0_3:                                ; =>This Inner Loop Header: Depth=1
	global_load_b32 v11, v[9:10], off
	v_add_nc_u32_e32 v6, 2, v6
	v_add_co_u32 v9, s2, v9, 8
	s_delay_alu instid0(VALU_DEP_1) | instskip(SKIP_2) | instid1(VALU_DEP_1)
	v_add_co_ci_u32_e64 v10, s2, 0, v10, s2
	s_waitcnt vmcnt(0)
	v_ashrrev_i32_e32 v12, 31, v11
	v_lshlrev_b64 v[11:12], 3, v[11:12]
	s_delay_alu instid0(VALU_DEP_1) | instskip(NEXT) | instid1(VALU_DEP_2)
	v_add_co_u32 v11, vcc_lo, s6, v11
	v_add_co_ci_u32_e32 v12, vcc_lo, s7, v12, vcc_lo
	global_load_b64 v[13:14], v[7:8], off
	global_load_b64 v[11:12], v[11:12], off
	v_add_co_u32 v7, vcc_lo, v7, 16
	v_add_co_ci_u32_e32 v8, vcc_lo, 0, v8, vcc_lo
	v_cmp_ge_i32_e32 vcc_lo, v6, v5
	s_or_b32 s8, vcc_lo, s8
	s_waitcnt vmcnt(0)
	v_mul_f64 v[11:12], v[13:14], v[11:12]
	s_delay_alu instid0(VALU_DEP_1)
	v_add_f64 v[3:4], v[3:4], v[11:12]
	s_and_not1_b32 exec_lo, exec_lo, s8
	s_cbranch_execnz .LBB0_3
; %bb.4:
	s_or_b32 exec_lo, exec_lo, s8
.LBB0_5:
	s_delay_alu instid0(SALU_CYCLE_1) | instskip(SKIP_2) | instid1(VALU_DEP_2)
	s_or_b32 exec_lo, exec_lo, s3
	v_mbcnt_lo_u32_b32 v5, -1, 0
	v_cmp_eq_u32_e32 vcc_lo, 0, v0
	v_lshl_or_b32 v6, v5, 2, 4
	ds_bpermute_b32 v5, v6, v3
	ds_bpermute_b32 v6, v6, v4
	s_and_b32 exec_lo, exec_lo, vcc_lo
	s_cbranch_execz .LBB0_9
; %bb.6:
	s_waitcnt lgkmcnt(0)
	v_add_f64 v[3:4], v[3:4], v[5:6]
	s_load_b128 s[0:3], s[0:1], 0x30
	v_lshlrev_b64 v[0:1], 3, v[1:2]
	s_delay_alu instid0(VALU_DEP_1) | instskip(NEXT) | instid1(VALU_DEP_2)
	v_add_co_u32 v0, vcc_lo, s4, v0
	v_add_co_ci_u32_e32 v1, vcc_lo, s5, v1, vcc_lo
	s_waitcnt lgkmcnt(0)
	v_cmp_eq_f64_e64 s6, s[2:3], 0
	v_mul_f64 v[3:4], v[3:4], s[0:1]
	s_delay_alu instid0(VALU_DEP_2)
	s_and_b32 vcc_lo, exec_lo, s6
	s_cbranch_vccnz .LBB0_8
; %bb.7:
	global_load_b64 v[5:6], v[0:1], off
	s_waitcnt vmcnt(0)
	v_fma_f64 v[3:4], v[5:6], s[2:3], v[3:4]
.LBB0_8:
	global_store_b64 v[0:1], v[3:4], off
.LBB0_9:
	s_nop 0
	s_sendmsg sendmsg(MSG_DEALLOC_VGPRS)
	s_endpgm
	.section	.rodata,"a",@progbits
	.p2align	6, 0x0
	.amdhsa_kernel _Z17vector_csr_kernelILi2EEviPKiS1_PKdS3_Pddd
		.amdhsa_group_segment_fixed_size 0
		.amdhsa_private_segment_fixed_size 0
		.amdhsa_kernarg_size 320
		.amdhsa_user_sgpr_count 15
		.amdhsa_user_sgpr_dispatch_ptr 0
		.amdhsa_user_sgpr_queue_ptr 0
		.amdhsa_user_sgpr_kernarg_segment_ptr 1
		.amdhsa_user_sgpr_dispatch_id 0
		.amdhsa_user_sgpr_private_segment_size 0
		.amdhsa_wavefront_size32 1
		.amdhsa_uses_dynamic_stack 0
		.amdhsa_enable_private_segment 0
		.amdhsa_system_sgpr_workgroup_id_x 1
		.amdhsa_system_sgpr_workgroup_id_y 0
		.amdhsa_system_sgpr_workgroup_id_z 0
		.amdhsa_system_sgpr_workgroup_info 0
		.amdhsa_system_vgpr_workitem_id 1
		.amdhsa_next_free_vgpr 15
		.amdhsa_next_free_sgpr 16
		.amdhsa_reserve_vcc 1
		.amdhsa_float_round_mode_32 0
		.amdhsa_float_round_mode_16_64 0
		.amdhsa_float_denorm_mode_32 3
		.amdhsa_float_denorm_mode_16_64 3
		.amdhsa_dx10_clamp 1
		.amdhsa_ieee_mode 1
		.amdhsa_fp16_overflow 0
		.amdhsa_workgroup_processor_mode 1
		.amdhsa_memory_ordered 1
		.amdhsa_forward_progress 0
		.amdhsa_shared_vgpr_count 0
		.amdhsa_exception_fp_ieee_invalid_op 0
		.amdhsa_exception_fp_denorm_src 0
		.amdhsa_exception_fp_ieee_div_zero 0
		.amdhsa_exception_fp_ieee_overflow 0
		.amdhsa_exception_fp_ieee_underflow 0
		.amdhsa_exception_fp_ieee_inexact 0
		.amdhsa_exception_int_div_zero 0
	.end_amdhsa_kernel
	.section	.text._Z17vector_csr_kernelILi2EEviPKiS1_PKdS3_Pddd,"axG",@progbits,_Z17vector_csr_kernelILi2EEviPKiS1_PKdS3_Pddd,comdat
.Lfunc_end0:
	.size	_Z17vector_csr_kernelILi2EEviPKiS1_PKdS3_Pddd, .Lfunc_end0-_Z17vector_csr_kernelILi2EEviPKiS1_PKdS3_Pddd
                                        ; -- End function
	.section	.AMDGPU.csdata,"",@progbits
; Kernel info:
; codeLenInByte = 572
; NumSgprs: 18
; NumVgprs: 15
; ScratchSize: 0
; MemoryBound: 0
; FloatMode: 240
; IeeeMode: 1
; LDSByteSize: 0 bytes/workgroup (compile time only)
; SGPRBlocks: 2
; VGPRBlocks: 1
; NumSGPRsForWavesPerEU: 18
; NumVGPRsForWavesPerEU: 15
; Occupancy: 16
; WaveLimiterHint : 1
; COMPUTE_PGM_RSRC2:SCRATCH_EN: 0
; COMPUTE_PGM_RSRC2:USER_SGPR: 15
; COMPUTE_PGM_RSRC2:TRAP_HANDLER: 0
; COMPUTE_PGM_RSRC2:TGID_X_EN: 1
; COMPUTE_PGM_RSRC2:TGID_Y_EN: 0
; COMPUTE_PGM_RSRC2:TGID_Z_EN: 0
; COMPUTE_PGM_RSRC2:TIDIG_COMP_CNT: 1
	.section	.text._Z17vector_csr_kernelILi4EEviPKiS1_PKdS3_Pddd,"axG",@progbits,_Z17vector_csr_kernelILi4EEviPKiS1_PKdS3_Pddd,comdat
	.protected	_Z17vector_csr_kernelILi4EEviPKiS1_PKdS3_Pddd ; -- Begin function _Z17vector_csr_kernelILi4EEviPKiS1_PKdS3_Pddd
	.globl	_Z17vector_csr_kernelILi4EEviPKiS1_PKdS3_Pddd
	.p2align	8
	.type	_Z17vector_csr_kernelILi4EEviPKiS1_PKdS3_Pddd,@function
_Z17vector_csr_kernelILi4EEviPKiS1_PKdS3_Pddd: ; @_Z17vector_csr_kernelILi4EEviPKiS1_PKdS3_Pddd
; %bb.0:
	s_clause 0x1
	s_load_b32 s2, s[0:1], 0x4c
	s_load_b32 s3, s[0:1], 0x0
	v_bfe_u32 v3, v0, 10, 10
	s_waitcnt lgkmcnt(0)
	s_lshr_b32 s2, s2, 16
	s_delay_alu instid0(VALU_DEP_1) | instid1(SALU_CYCLE_1)
	v_mad_u64_u32 v[1:2], null, s15, s2, v[3:4]
	s_mov_b32 s2, exec_lo
	s_delay_alu instid0(VALU_DEP_1)
	v_cmpx_gt_i32_e64 s3, v1
	s_cbranch_execz .LBB1_9
; %bb.1:
	s_clause 0x1
	s_load_b64 s[2:3], s[0:1], 0x8
	s_load_b64 s[4:5], s[0:1], 0x28
	v_ashrrev_i32_e32 v2, 31, v1
	v_dual_mov_b32 v7, 0 :: v_dual_and_b32 v0, 0x3ff, v0
	v_mov_b32_e32 v8, 0
	s_delay_alu instid0(VALU_DEP_3) | instskip(SKIP_1) | instid1(VALU_DEP_1)
	v_lshlrev_b64 v[3:4], 2, v[1:2]
	s_waitcnt lgkmcnt(0)
	v_add_co_u32 v3, vcc_lo, s2, v3
	s_delay_alu instid0(VALU_DEP_2) | instskip(SKIP_4) | instid1(VALU_DEP_1)
	v_add_co_ci_u32_e32 v4, vcc_lo, s3, v4, vcc_lo
	s_mov_b32 s3, exec_lo
	global_load_b64 v[3:4], v[3:4], off
	s_waitcnt vmcnt(0)
	v_add_nc_u32_e32 v5, v3, v0
	v_cmpx_lt_i32_e64 v5, v4
	s_cbranch_execz .LBB1_5
; %bb.2:
	s_clause 0x1
	s_load_b128 s[8:11], s[0:1], 0x10
	s_load_b64 s[6:7], s[0:1], 0x20
	v_ashrrev_i32_e32 v6, 31, v5
	v_mov_b32_e32 v7, 0
	v_mov_b32_e32 v8, 0
	s_delay_alu instid0(VALU_DEP_3) | instskip(SKIP_2) | instid1(VALU_DEP_2)
	v_lshlrev_b64 v[9:10], 3, v[5:6]
	v_lshlrev_b64 v[11:12], 2, v[5:6]
	s_waitcnt lgkmcnt(0)
	v_add_co_u32 v9, vcc_lo, s10, v9
	s_delay_alu instid0(VALU_DEP_3) | instskip(NEXT) | instid1(VALU_DEP_3)
	v_add_co_ci_u32_e32 v10, vcc_lo, s11, v10, vcc_lo
	v_add_co_u32 v11, vcc_lo, s8, v11
	s_delay_alu instid0(VALU_DEP_4)
	v_add_co_ci_u32_e32 v12, vcc_lo, s9, v12, vcc_lo
	s_mov_b32 s8, 0
	.p2align	6
.LBB1_3:                                ; =>This Inner Loop Header: Depth=1
	global_load_b32 v13, v[11:12], off
	v_add_nc_u32_e32 v5, 4, v5
	v_add_co_u32 v11, s2, v11, 16
	s_delay_alu instid0(VALU_DEP_1) | instskip(SKIP_2) | instid1(VALU_DEP_1)
	v_add_co_ci_u32_e64 v12, s2, 0, v12, s2
	s_waitcnt vmcnt(0)
	v_ashrrev_i32_e32 v14, 31, v13
	v_lshlrev_b64 v[13:14], 3, v[13:14]
	s_delay_alu instid0(VALU_DEP_1) | instskip(NEXT) | instid1(VALU_DEP_2)
	v_add_co_u32 v13, vcc_lo, s6, v13
	v_add_co_ci_u32_e32 v14, vcc_lo, s7, v14, vcc_lo
	global_load_b64 v[15:16], v[9:10], off
	global_load_b64 v[13:14], v[13:14], off
	v_add_co_u32 v9, vcc_lo, v9, 32
	v_add_co_ci_u32_e32 v10, vcc_lo, 0, v10, vcc_lo
	v_cmp_ge_i32_e32 vcc_lo, v5, v4
	s_or_b32 s8, vcc_lo, s8
	s_waitcnt vmcnt(0)
	v_mul_f64 v[13:14], v[15:16], v[13:14]
	s_delay_alu instid0(VALU_DEP_1)
	v_add_f64 v[7:8], v[7:8], v[13:14]
	s_and_not1_b32 exec_lo, exec_lo, s8
	s_cbranch_execnz .LBB1_3
; %bb.4:
	s_or_b32 exec_lo, exec_lo, s8
.LBB1_5:
	s_delay_alu instid0(SALU_CYCLE_1) | instskip(SKIP_1) | instid1(VALU_DEP_1)
	s_or_b32 exec_lo, exec_lo, s3
	v_mbcnt_lo_u32_b32 v5, -1, 0
	v_and_b32_e32 v6, 3, v5
	s_delay_alu instid0(VALU_DEP_1) | instskip(SKIP_2) | instid1(VALU_DEP_2)
	v_cmp_gt_u32_e32 vcc_lo, 2, v6
	v_cndmask_b32_e64 v3, 0, 1, vcc_lo
	v_cmp_ne_u32_e32 vcc_lo, 3, v6
	v_lshlrev_b32_e32 v3, 1, v3
	s_delay_alu instid0(VALU_DEP_1)
	v_add_lshl_u32 v4, v3, v5, 2
	v_add_co_ci_u32_e32 v5, vcc_lo, 0, v5, vcc_lo
	v_cmp_eq_u32_e32 vcc_lo, 0, v0
	ds_bpermute_b32 v3, v4, v7
	ds_bpermute_b32 v4, v4, v8
	v_lshlrev_b32_e32 v6, 2, v5
	s_waitcnt lgkmcnt(0)
	v_add_f64 v[3:4], v[7:8], v[3:4]
	ds_bpermute_b32 v5, v6, v3
	ds_bpermute_b32 v6, v6, v4
	s_and_b32 exec_lo, exec_lo, vcc_lo
	s_cbranch_execz .LBB1_9
; %bb.6:
	s_waitcnt lgkmcnt(0)
	v_add_f64 v[3:4], v[3:4], v[5:6]
	s_load_b128 s[0:3], s[0:1], 0x30
	v_lshlrev_b64 v[0:1], 3, v[1:2]
	s_delay_alu instid0(VALU_DEP_1) | instskip(NEXT) | instid1(VALU_DEP_2)
	v_add_co_u32 v0, vcc_lo, s4, v0
	v_add_co_ci_u32_e32 v1, vcc_lo, s5, v1, vcc_lo
	s_waitcnt lgkmcnt(0)
	v_cmp_eq_f64_e64 s6, s[2:3], 0
	v_mul_f64 v[3:4], v[3:4], s[0:1]
	s_delay_alu instid0(VALU_DEP_2)
	s_and_b32 vcc_lo, exec_lo, s6
	s_cbranch_vccnz .LBB1_8
; %bb.7:
	global_load_b64 v[5:6], v[0:1], off
	s_waitcnt vmcnt(0)
	v_fma_f64 v[3:4], v[5:6], s[2:3], v[3:4]
.LBB1_8:
	global_store_b64 v[0:1], v[3:4], off
.LBB1_9:
	s_nop 0
	s_sendmsg sendmsg(MSG_DEALLOC_VGPRS)
	s_endpgm
	.section	.rodata,"a",@progbits
	.p2align	6, 0x0
	.amdhsa_kernel _Z17vector_csr_kernelILi4EEviPKiS1_PKdS3_Pddd
		.amdhsa_group_segment_fixed_size 0
		.amdhsa_private_segment_fixed_size 0
		.amdhsa_kernarg_size 320
		.amdhsa_user_sgpr_count 15
		.amdhsa_user_sgpr_dispatch_ptr 0
		.amdhsa_user_sgpr_queue_ptr 0
		.amdhsa_user_sgpr_kernarg_segment_ptr 1
		.amdhsa_user_sgpr_dispatch_id 0
		.amdhsa_user_sgpr_private_segment_size 0
		.amdhsa_wavefront_size32 1
		.amdhsa_uses_dynamic_stack 0
		.amdhsa_enable_private_segment 0
		.amdhsa_system_sgpr_workgroup_id_x 1
		.amdhsa_system_sgpr_workgroup_id_y 0
		.amdhsa_system_sgpr_workgroup_id_z 0
		.amdhsa_system_sgpr_workgroup_info 0
		.amdhsa_system_vgpr_workitem_id 1
		.amdhsa_next_free_vgpr 17
		.amdhsa_next_free_sgpr 16
		.amdhsa_reserve_vcc 1
		.amdhsa_float_round_mode_32 0
		.amdhsa_float_round_mode_16_64 0
		.amdhsa_float_denorm_mode_32 3
		.amdhsa_float_denorm_mode_16_64 3
		.amdhsa_dx10_clamp 1
		.amdhsa_ieee_mode 1
		.amdhsa_fp16_overflow 0
		.amdhsa_workgroup_processor_mode 1
		.amdhsa_memory_ordered 1
		.amdhsa_forward_progress 0
		.amdhsa_shared_vgpr_count 0
		.amdhsa_exception_fp_ieee_invalid_op 0
		.amdhsa_exception_fp_denorm_src 0
		.amdhsa_exception_fp_ieee_div_zero 0
		.amdhsa_exception_fp_ieee_overflow 0
		.amdhsa_exception_fp_ieee_underflow 0
		.amdhsa_exception_fp_ieee_inexact 0
		.amdhsa_exception_int_div_zero 0
	.end_amdhsa_kernel
	.section	.text._Z17vector_csr_kernelILi4EEviPKiS1_PKdS3_Pddd,"axG",@progbits,_Z17vector_csr_kernelILi4EEviPKiS1_PKdS3_Pddd,comdat
.Lfunc_end1:
	.size	_Z17vector_csr_kernelILi4EEviPKiS1_PKdS3_Pddd, .Lfunc_end1-_Z17vector_csr_kernelILi4EEviPKiS1_PKdS3_Pddd
                                        ; -- End function
	.section	.AMDGPU.csdata,"",@progbits
; Kernel info:
; codeLenInByte = 636
; NumSgprs: 18
; NumVgprs: 17
; ScratchSize: 0
; MemoryBound: 0
; FloatMode: 240
; IeeeMode: 1
; LDSByteSize: 0 bytes/workgroup (compile time only)
; SGPRBlocks: 2
; VGPRBlocks: 2
; NumSGPRsForWavesPerEU: 18
; NumVGPRsForWavesPerEU: 17
; Occupancy: 16
; WaveLimiterHint : 1
; COMPUTE_PGM_RSRC2:SCRATCH_EN: 0
; COMPUTE_PGM_RSRC2:USER_SGPR: 15
; COMPUTE_PGM_RSRC2:TRAP_HANDLER: 0
; COMPUTE_PGM_RSRC2:TGID_X_EN: 1
; COMPUTE_PGM_RSRC2:TGID_Y_EN: 0
; COMPUTE_PGM_RSRC2:TGID_Z_EN: 0
; COMPUTE_PGM_RSRC2:TIDIG_COMP_CNT: 1
	.section	.text._Z17vector_csr_kernelILi8EEviPKiS1_PKdS3_Pddd,"axG",@progbits,_Z17vector_csr_kernelILi8EEviPKiS1_PKdS3_Pddd,comdat
	.protected	_Z17vector_csr_kernelILi8EEviPKiS1_PKdS3_Pddd ; -- Begin function _Z17vector_csr_kernelILi8EEviPKiS1_PKdS3_Pddd
	.globl	_Z17vector_csr_kernelILi8EEviPKiS1_PKdS3_Pddd
	.p2align	8
	.type	_Z17vector_csr_kernelILi8EEviPKiS1_PKdS3_Pddd,@function
_Z17vector_csr_kernelILi8EEviPKiS1_PKdS3_Pddd: ; @_Z17vector_csr_kernelILi8EEviPKiS1_PKdS3_Pddd
; %bb.0:
	s_clause 0x1
	s_load_b32 s2, s[0:1], 0x4c
	s_load_b32 s3, s[0:1], 0x0
	v_bfe_u32 v3, v0, 10, 10
	s_waitcnt lgkmcnt(0)
	s_lshr_b32 s2, s2, 16
	s_delay_alu instid0(VALU_DEP_1) | instid1(SALU_CYCLE_1)
	v_mad_u64_u32 v[1:2], null, s15, s2, v[3:4]
	s_mov_b32 s2, exec_lo
	s_delay_alu instid0(VALU_DEP_1)
	v_cmpx_gt_i32_e64 s3, v1
	s_cbranch_execz .LBB2_9
; %bb.1:
	s_clause 0x1
	s_load_b64 s[2:3], s[0:1], 0x8
	s_load_b64 s[4:5], s[0:1], 0x28
	v_ashrrev_i32_e32 v2, 31, v1
	v_dual_mov_b32 v7, 0 :: v_dual_and_b32 v0, 0x3ff, v0
	v_mov_b32_e32 v8, 0
	s_delay_alu instid0(VALU_DEP_3) | instskip(SKIP_1) | instid1(VALU_DEP_1)
	v_lshlrev_b64 v[3:4], 2, v[1:2]
	s_waitcnt lgkmcnt(0)
	v_add_co_u32 v3, vcc_lo, s2, v3
	s_delay_alu instid0(VALU_DEP_2) | instskip(SKIP_4) | instid1(VALU_DEP_1)
	v_add_co_ci_u32_e32 v4, vcc_lo, s3, v4, vcc_lo
	s_mov_b32 s3, exec_lo
	global_load_b64 v[3:4], v[3:4], off
	s_waitcnt vmcnt(0)
	v_add_nc_u32_e32 v5, v3, v0
	v_cmpx_lt_i32_e64 v5, v4
	s_cbranch_execz .LBB2_5
; %bb.2:
	s_clause 0x1
	s_load_b128 s[8:11], s[0:1], 0x10
	s_load_b64 s[6:7], s[0:1], 0x20
	v_ashrrev_i32_e32 v6, 31, v5
	v_mov_b32_e32 v7, 0
	v_mov_b32_e32 v8, 0
	s_delay_alu instid0(VALU_DEP_3) | instskip(SKIP_2) | instid1(VALU_DEP_2)
	v_lshlrev_b64 v[9:10], 3, v[5:6]
	v_lshlrev_b64 v[11:12], 2, v[5:6]
	s_waitcnt lgkmcnt(0)
	v_add_co_u32 v9, vcc_lo, s10, v9
	s_delay_alu instid0(VALU_DEP_3) | instskip(NEXT) | instid1(VALU_DEP_3)
	v_add_co_ci_u32_e32 v10, vcc_lo, s11, v10, vcc_lo
	v_add_co_u32 v11, vcc_lo, s8, v11
	s_delay_alu instid0(VALU_DEP_4)
	v_add_co_ci_u32_e32 v12, vcc_lo, s9, v12, vcc_lo
	s_mov_b32 s8, 0
	.p2align	6
.LBB2_3:                                ; =>This Inner Loop Header: Depth=1
	global_load_b32 v13, v[11:12], off
	v_add_nc_u32_e32 v5, 8, v5
	v_add_co_u32 v11, s2, v11, 32
	s_delay_alu instid0(VALU_DEP_1) | instskip(SKIP_2) | instid1(VALU_DEP_1)
	v_add_co_ci_u32_e64 v12, s2, 0, v12, s2
	s_waitcnt vmcnt(0)
	v_ashrrev_i32_e32 v14, 31, v13
	v_lshlrev_b64 v[13:14], 3, v[13:14]
	s_delay_alu instid0(VALU_DEP_1) | instskip(NEXT) | instid1(VALU_DEP_2)
	v_add_co_u32 v13, vcc_lo, s6, v13
	v_add_co_ci_u32_e32 v14, vcc_lo, s7, v14, vcc_lo
	global_load_b64 v[15:16], v[9:10], off
	global_load_b64 v[13:14], v[13:14], off
	v_add_co_u32 v9, vcc_lo, v9, 64
	v_add_co_ci_u32_e32 v10, vcc_lo, 0, v10, vcc_lo
	v_cmp_ge_i32_e32 vcc_lo, v5, v4
	s_or_b32 s8, vcc_lo, s8
	s_waitcnt vmcnt(0)
	v_mul_f64 v[13:14], v[15:16], v[13:14]
	s_delay_alu instid0(VALU_DEP_1)
	v_add_f64 v[7:8], v[7:8], v[13:14]
	s_and_not1_b32 exec_lo, exec_lo, s8
	s_cbranch_execnz .LBB2_3
; %bb.4:
	s_or_b32 exec_lo, exec_lo, s8
.LBB2_5:
	s_delay_alu instid0(SALU_CYCLE_1) | instskip(SKIP_1) | instid1(VALU_DEP_1)
	s_or_b32 exec_lo, exec_lo, s3
	v_mbcnt_lo_u32_b32 v9, -1, 0
	v_and_b32_e32 v10, 7, v9
	s_delay_alu instid0(VALU_DEP_1) | instskip(SKIP_2) | instid1(VALU_DEP_2)
	v_cmp_gt_u32_e32 vcc_lo, 4, v10
	v_cndmask_b32_e64 v3, 0, 1, vcc_lo
	v_cmp_gt_u32_e32 vcc_lo, 6, v10
	v_lshlrev_b32_e32 v3, 2, v3
	v_cndmask_b32_e64 v5, 0, 1, vcc_lo
	v_cmp_ne_u32_e32 vcc_lo, 7, v10
	s_delay_alu instid0(VALU_DEP_3) | instskip(NEXT) | instid1(VALU_DEP_3)
	v_add_lshl_u32 v4, v3, v9, 2
	v_lshlrev_b32_e32 v5, 1, v5
	ds_bpermute_b32 v3, v4, v7
	ds_bpermute_b32 v4, v4, v8
	v_add_lshl_u32 v6, v5, v9, 2
	s_waitcnt lgkmcnt(0)
	v_add_f64 v[3:4], v[7:8], v[3:4]
	ds_bpermute_b32 v5, v6, v3
	ds_bpermute_b32 v6, v6, v4
	s_waitcnt lgkmcnt(0)
	v_add_f64 v[3:4], v[3:4], v[5:6]
	v_add_co_ci_u32_e32 v5, vcc_lo, 0, v9, vcc_lo
	v_cmp_eq_u32_e32 vcc_lo, 0, v0
	s_delay_alu instid0(VALU_DEP_2)
	v_lshlrev_b32_e32 v6, 2, v5
	ds_bpermute_b32 v5, v6, v3
	ds_bpermute_b32 v6, v6, v4
	s_and_b32 exec_lo, exec_lo, vcc_lo
	s_cbranch_execz .LBB2_9
; %bb.6:
	s_waitcnt lgkmcnt(0)
	v_add_f64 v[3:4], v[3:4], v[5:6]
	s_load_b128 s[0:3], s[0:1], 0x30
	v_lshlrev_b64 v[0:1], 3, v[1:2]
	s_delay_alu instid0(VALU_DEP_1) | instskip(NEXT) | instid1(VALU_DEP_2)
	v_add_co_u32 v0, vcc_lo, s4, v0
	v_add_co_ci_u32_e32 v1, vcc_lo, s5, v1, vcc_lo
	s_waitcnt lgkmcnt(0)
	v_cmp_eq_f64_e64 s6, s[2:3], 0
	v_mul_f64 v[3:4], v[3:4], s[0:1]
	s_delay_alu instid0(VALU_DEP_2)
	s_and_b32 vcc_lo, exec_lo, s6
	s_cbranch_vccnz .LBB2_8
; %bb.7:
	global_load_b64 v[5:6], v[0:1], off
	s_waitcnt vmcnt(0)
	v_fma_f64 v[3:4], v[5:6], s[2:3], v[3:4]
.LBB2_8:
	global_store_b64 v[0:1], v[3:4], off
.LBB2_9:
	s_nop 0
	s_sendmsg sendmsg(MSG_DEALLOC_VGPRS)
	s_endpgm
	.section	.rodata,"a",@progbits
	.p2align	6, 0x0
	.amdhsa_kernel _Z17vector_csr_kernelILi8EEviPKiS1_PKdS3_Pddd
		.amdhsa_group_segment_fixed_size 0
		.amdhsa_private_segment_fixed_size 0
		.amdhsa_kernarg_size 320
		.amdhsa_user_sgpr_count 15
		.amdhsa_user_sgpr_dispatch_ptr 0
		.amdhsa_user_sgpr_queue_ptr 0
		.amdhsa_user_sgpr_kernarg_segment_ptr 1
		.amdhsa_user_sgpr_dispatch_id 0
		.amdhsa_user_sgpr_private_segment_size 0
		.amdhsa_wavefront_size32 1
		.amdhsa_uses_dynamic_stack 0
		.amdhsa_enable_private_segment 0
		.amdhsa_system_sgpr_workgroup_id_x 1
		.amdhsa_system_sgpr_workgroup_id_y 0
		.amdhsa_system_sgpr_workgroup_id_z 0
		.amdhsa_system_sgpr_workgroup_info 0
		.amdhsa_system_vgpr_workitem_id 1
		.amdhsa_next_free_vgpr 17
		.amdhsa_next_free_sgpr 16
		.amdhsa_reserve_vcc 1
		.amdhsa_float_round_mode_32 0
		.amdhsa_float_round_mode_16_64 0
		.amdhsa_float_denorm_mode_32 3
		.amdhsa_float_denorm_mode_16_64 3
		.amdhsa_dx10_clamp 1
		.amdhsa_ieee_mode 1
		.amdhsa_fp16_overflow 0
		.amdhsa_workgroup_processor_mode 1
		.amdhsa_memory_ordered 1
		.amdhsa_forward_progress 0
		.amdhsa_shared_vgpr_count 0
		.amdhsa_exception_fp_ieee_invalid_op 0
		.amdhsa_exception_fp_denorm_src 0
		.amdhsa_exception_fp_ieee_div_zero 0
		.amdhsa_exception_fp_ieee_overflow 0
		.amdhsa_exception_fp_ieee_underflow 0
		.amdhsa_exception_fp_ieee_inexact 0
		.amdhsa_exception_int_div_zero 0
	.end_amdhsa_kernel
	.section	.text._Z17vector_csr_kernelILi8EEviPKiS1_PKdS3_Pddd,"axG",@progbits,_Z17vector_csr_kernelILi8EEviPKiS1_PKdS3_Pddd,comdat
.Lfunc_end2:
	.size	_Z17vector_csr_kernelILi8EEviPKiS1_PKdS3_Pddd, .Lfunc_end2-_Z17vector_csr_kernelILi8EEviPKiS1_PKdS3_Pddd
                                        ; -- End function
	.section	.AMDGPU.csdata,"",@progbits
; Kernel info:
; codeLenInByte = 692
; NumSgprs: 18
; NumVgprs: 17
; ScratchSize: 0
; MemoryBound: 0
; FloatMode: 240
; IeeeMode: 1
; LDSByteSize: 0 bytes/workgroup (compile time only)
; SGPRBlocks: 2
; VGPRBlocks: 2
; NumSGPRsForWavesPerEU: 18
; NumVGPRsForWavesPerEU: 17
; Occupancy: 16
; WaveLimiterHint : 1
; COMPUTE_PGM_RSRC2:SCRATCH_EN: 0
; COMPUTE_PGM_RSRC2:USER_SGPR: 15
; COMPUTE_PGM_RSRC2:TRAP_HANDLER: 0
; COMPUTE_PGM_RSRC2:TGID_X_EN: 1
; COMPUTE_PGM_RSRC2:TGID_Y_EN: 0
; COMPUTE_PGM_RSRC2:TGID_Z_EN: 0
; COMPUTE_PGM_RSRC2:TIDIG_COMP_CNT: 1
	.section	.text._Z17vector_csr_kernelILi16EEviPKiS1_PKdS3_Pddd,"axG",@progbits,_Z17vector_csr_kernelILi16EEviPKiS1_PKdS3_Pddd,comdat
	.protected	_Z17vector_csr_kernelILi16EEviPKiS1_PKdS3_Pddd ; -- Begin function _Z17vector_csr_kernelILi16EEviPKiS1_PKdS3_Pddd
	.globl	_Z17vector_csr_kernelILi16EEviPKiS1_PKdS3_Pddd
	.p2align	8
	.type	_Z17vector_csr_kernelILi16EEviPKiS1_PKdS3_Pddd,@function
_Z17vector_csr_kernelILi16EEviPKiS1_PKdS3_Pddd: ; @_Z17vector_csr_kernelILi16EEviPKiS1_PKdS3_Pddd
; %bb.0:
	s_clause 0x1
	s_load_b32 s2, s[0:1], 0x4c
	s_load_b32 s3, s[0:1], 0x0
	v_bfe_u32 v3, v0, 10, 10
	s_waitcnt lgkmcnt(0)
	s_lshr_b32 s2, s2, 16
	s_delay_alu instid0(VALU_DEP_1) | instid1(SALU_CYCLE_1)
	v_mad_u64_u32 v[1:2], null, s15, s2, v[3:4]
	s_mov_b32 s2, exec_lo
	s_delay_alu instid0(VALU_DEP_1)
	v_cmpx_gt_i32_e64 s3, v1
	s_cbranch_execz .LBB3_9
; %bb.1:
	s_clause 0x1
	s_load_b64 s[2:3], s[0:1], 0x8
	s_load_b64 s[4:5], s[0:1], 0x28
	v_ashrrev_i32_e32 v2, 31, v1
	v_dual_mov_b32 v7, 0 :: v_dual_and_b32 v0, 0x3ff, v0
	v_mov_b32_e32 v8, 0
	s_delay_alu instid0(VALU_DEP_3) | instskip(SKIP_1) | instid1(VALU_DEP_1)
	v_lshlrev_b64 v[3:4], 2, v[1:2]
	s_waitcnt lgkmcnt(0)
	v_add_co_u32 v3, vcc_lo, s2, v3
	s_delay_alu instid0(VALU_DEP_2) | instskip(SKIP_4) | instid1(VALU_DEP_1)
	v_add_co_ci_u32_e32 v4, vcc_lo, s3, v4, vcc_lo
	s_mov_b32 s3, exec_lo
	global_load_b64 v[3:4], v[3:4], off
	s_waitcnt vmcnt(0)
	v_add_nc_u32_e32 v5, v3, v0
	v_cmpx_lt_i32_e64 v5, v4
	s_cbranch_execz .LBB3_5
; %bb.2:
	s_clause 0x1
	s_load_b128 s[8:11], s[0:1], 0x10
	s_load_b64 s[6:7], s[0:1], 0x20
	v_ashrrev_i32_e32 v6, 31, v5
	v_mov_b32_e32 v7, 0
	v_mov_b32_e32 v8, 0
	s_delay_alu instid0(VALU_DEP_3) | instskip(SKIP_2) | instid1(VALU_DEP_2)
	v_lshlrev_b64 v[9:10], 3, v[5:6]
	v_lshlrev_b64 v[11:12], 2, v[5:6]
	s_waitcnt lgkmcnt(0)
	v_add_co_u32 v9, vcc_lo, s10, v9
	s_delay_alu instid0(VALU_DEP_3) | instskip(NEXT) | instid1(VALU_DEP_3)
	v_add_co_ci_u32_e32 v10, vcc_lo, s11, v10, vcc_lo
	v_add_co_u32 v11, vcc_lo, s8, v11
	s_delay_alu instid0(VALU_DEP_4)
	v_add_co_ci_u32_e32 v12, vcc_lo, s9, v12, vcc_lo
	s_mov_b32 s8, 0
	.p2align	6
.LBB3_3:                                ; =>This Inner Loop Header: Depth=1
	global_load_b32 v13, v[11:12], off
	v_add_nc_u32_e32 v5, 16, v5
	v_add_co_u32 v11, s2, v11, 64
	s_delay_alu instid0(VALU_DEP_1) | instskip(SKIP_2) | instid1(VALU_DEP_1)
	v_add_co_ci_u32_e64 v12, s2, 0, v12, s2
	s_waitcnt vmcnt(0)
	v_ashrrev_i32_e32 v14, 31, v13
	v_lshlrev_b64 v[13:14], 3, v[13:14]
	s_delay_alu instid0(VALU_DEP_1) | instskip(NEXT) | instid1(VALU_DEP_2)
	v_add_co_u32 v13, vcc_lo, s6, v13
	v_add_co_ci_u32_e32 v14, vcc_lo, s7, v14, vcc_lo
	global_load_b64 v[15:16], v[9:10], off
	global_load_b64 v[13:14], v[13:14], off
	v_add_co_u32 v9, vcc_lo, 0x80, v9
	v_add_co_ci_u32_e32 v10, vcc_lo, 0, v10, vcc_lo
	v_cmp_ge_i32_e32 vcc_lo, v5, v4
	s_or_b32 s8, vcc_lo, s8
	s_waitcnt vmcnt(0)
	v_mul_f64 v[13:14], v[15:16], v[13:14]
	s_delay_alu instid0(VALU_DEP_1)
	v_add_f64 v[7:8], v[7:8], v[13:14]
	s_and_not1_b32 exec_lo, exec_lo, s8
	s_cbranch_execnz .LBB3_3
; %bb.4:
	s_or_b32 exec_lo, exec_lo, s8
.LBB3_5:
	s_delay_alu instid0(SALU_CYCLE_1) | instskip(SKIP_1) | instid1(VALU_DEP_1)
	s_or_b32 exec_lo, exec_lo, s3
	v_mbcnt_lo_u32_b32 v9, -1, 0
	v_and_b32_e32 v10, 15, v9
	s_delay_alu instid0(VALU_DEP_1) | instskip(SKIP_2) | instid1(VALU_DEP_2)
	v_cmp_gt_u32_e32 vcc_lo, 8, v10
	v_cndmask_b32_e64 v3, 0, 1, vcc_lo
	v_cmp_gt_u32_e32 vcc_lo, 12, v10
	v_lshlrev_b32_e32 v3, 3, v3
	v_cndmask_b32_e64 v5, 0, 1, vcc_lo
	v_cmp_gt_u32_e32 vcc_lo, 14, v10
	s_delay_alu instid0(VALU_DEP_3) | instskip(NEXT) | instid1(VALU_DEP_3)
	v_add_lshl_u32 v4, v3, v9, 2
	v_lshlrev_b32_e32 v5, 2, v5
	ds_bpermute_b32 v3, v4, v7
	ds_bpermute_b32 v4, v4, v8
	v_add_lshl_u32 v6, v5, v9, 2
	s_waitcnt lgkmcnt(0)
	v_add_f64 v[3:4], v[7:8], v[3:4]
	ds_bpermute_b32 v5, v6, v3
	ds_bpermute_b32 v6, v6, v4
	s_waitcnt lgkmcnt(0)
	v_add_f64 v[3:4], v[3:4], v[5:6]
	v_cndmask_b32_e64 v5, 0, 1, vcc_lo
	v_cmp_ne_u32_e32 vcc_lo, 15, v10
	s_delay_alu instid0(VALU_DEP_2) | instskip(NEXT) | instid1(VALU_DEP_1)
	v_lshlrev_b32_e32 v5, 1, v5
	v_add_lshl_u32 v6, v5, v9, 2
	ds_bpermute_b32 v5, v6, v3
	ds_bpermute_b32 v6, v6, v4
	s_waitcnt lgkmcnt(0)
	v_add_f64 v[3:4], v[3:4], v[5:6]
	v_add_co_ci_u32_e32 v5, vcc_lo, 0, v9, vcc_lo
	v_cmp_eq_u32_e32 vcc_lo, 0, v0
	s_delay_alu instid0(VALU_DEP_2)
	v_lshlrev_b32_e32 v6, 2, v5
	ds_bpermute_b32 v5, v6, v3
	ds_bpermute_b32 v6, v6, v4
	s_and_b32 exec_lo, exec_lo, vcc_lo
	s_cbranch_execz .LBB3_9
; %bb.6:
	s_waitcnt lgkmcnt(0)
	v_add_f64 v[3:4], v[3:4], v[5:6]
	s_load_b128 s[0:3], s[0:1], 0x30
	v_lshlrev_b64 v[0:1], 3, v[1:2]
	s_delay_alu instid0(VALU_DEP_1) | instskip(NEXT) | instid1(VALU_DEP_2)
	v_add_co_u32 v0, vcc_lo, s4, v0
	v_add_co_ci_u32_e32 v1, vcc_lo, s5, v1, vcc_lo
	s_waitcnt lgkmcnt(0)
	v_cmp_eq_f64_e64 s6, s[2:3], 0
	v_mul_f64 v[3:4], v[3:4], s[0:1]
	s_delay_alu instid0(VALU_DEP_2)
	s_and_b32 vcc_lo, exec_lo, s6
	s_cbranch_vccnz .LBB3_8
; %bb.7:
	global_load_b64 v[5:6], v[0:1], off
	s_waitcnt vmcnt(0)
	v_fma_f64 v[3:4], v[5:6], s[2:3], v[3:4]
.LBB3_8:
	global_store_b64 v[0:1], v[3:4], off
.LBB3_9:
	s_nop 0
	s_sendmsg sendmsg(MSG_DEALLOC_VGPRS)
	s_endpgm
	.section	.rodata,"a",@progbits
	.p2align	6, 0x0
	.amdhsa_kernel _Z17vector_csr_kernelILi16EEviPKiS1_PKdS3_Pddd
		.amdhsa_group_segment_fixed_size 0
		.amdhsa_private_segment_fixed_size 0
		.amdhsa_kernarg_size 320
		.amdhsa_user_sgpr_count 15
		.amdhsa_user_sgpr_dispatch_ptr 0
		.amdhsa_user_sgpr_queue_ptr 0
		.amdhsa_user_sgpr_kernarg_segment_ptr 1
		.amdhsa_user_sgpr_dispatch_id 0
		.amdhsa_user_sgpr_private_segment_size 0
		.amdhsa_wavefront_size32 1
		.amdhsa_uses_dynamic_stack 0
		.amdhsa_enable_private_segment 0
		.amdhsa_system_sgpr_workgroup_id_x 1
		.amdhsa_system_sgpr_workgroup_id_y 0
		.amdhsa_system_sgpr_workgroup_id_z 0
		.amdhsa_system_sgpr_workgroup_info 0
		.amdhsa_system_vgpr_workitem_id 1
		.amdhsa_next_free_vgpr 17
		.amdhsa_next_free_sgpr 16
		.amdhsa_reserve_vcc 1
		.amdhsa_float_round_mode_32 0
		.amdhsa_float_round_mode_16_64 0
		.amdhsa_float_denorm_mode_32 3
		.amdhsa_float_denorm_mode_16_64 3
		.amdhsa_dx10_clamp 1
		.amdhsa_ieee_mode 1
		.amdhsa_fp16_overflow 0
		.amdhsa_workgroup_processor_mode 1
		.amdhsa_memory_ordered 1
		.amdhsa_forward_progress 0
		.amdhsa_shared_vgpr_count 0
		.amdhsa_exception_fp_ieee_invalid_op 0
		.amdhsa_exception_fp_denorm_src 0
		.amdhsa_exception_fp_ieee_div_zero 0
		.amdhsa_exception_fp_ieee_overflow 0
		.amdhsa_exception_fp_ieee_underflow 0
		.amdhsa_exception_fp_ieee_inexact 0
		.amdhsa_exception_int_div_zero 0
	.end_amdhsa_kernel
	.section	.text._Z17vector_csr_kernelILi16EEviPKiS1_PKdS3_Pddd,"axG",@progbits,_Z17vector_csr_kernelILi16EEviPKiS1_PKdS3_Pddd,comdat
.Lfunc_end3:
	.size	_Z17vector_csr_kernelILi16EEviPKiS1_PKdS3_Pddd, .Lfunc_end3-_Z17vector_csr_kernelILi16EEviPKiS1_PKdS3_Pddd
                                        ; -- End function
	.section	.AMDGPU.csdata,"",@progbits
; Kernel info:
; codeLenInByte = 752
; NumSgprs: 18
; NumVgprs: 17
; ScratchSize: 0
; MemoryBound: 0
; FloatMode: 240
; IeeeMode: 1
; LDSByteSize: 0 bytes/workgroup (compile time only)
; SGPRBlocks: 2
; VGPRBlocks: 2
; NumSGPRsForWavesPerEU: 18
; NumVGPRsForWavesPerEU: 17
; Occupancy: 16
; WaveLimiterHint : 1
; COMPUTE_PGM_RSRC2:SCRATCH_EN: 0
; COMPUTE_PGM_RSRC2:USER_SGPR: 15
; COMPUTE_PGM_RSRC2:TRAP_HANDLER: 0
; COMPUTE_PGM_RSRC2:TGID_X_EN: 1
; COMPUTE_PGM_RSRC2:TGID_Y_EN: 0
; COMPUTE_PGM_RSRC2:TGID_Z_EN: 0
; COMPUTE_PGM_RSRC2:TIDIG_COMP_CNT: 1
	.section	.text._Z17vector_csr_kernelILi32EEviPKiS1_PKdS3_Pddd,"axG",@progbits,_Z17vector_csr_kernelILi32EEviPKiS1_PKdS3_Pddd,comdat
	.protected	_Z17vector_csr_kernelILi32EEviPKiS1_PKdS3_Pddd ; -- Begin function _Z17vector_csr_kernelILi32EEviPKiS1_PKdS3_Pddd
	.globl	_Z17vector_csr_kernelILi32EEviPKiS1_PKdS3_Pddd
	.p2align	8
	.type	_Z17vector_csr_kernelILi32EEviPKiS1_PKdS3_Pddd,@function
_Z17vector_csr_kernelILi32EEviPKiS1_PKdS3_Pddd: ; @_Z17vector_csr_kernelILi32EEviPKiS1_PKdS3_Pddd
; %bb.0:
	s_clause 0x1
	s_load_b32 s2, s[0:1], 0x4c
	s_load_b32 s3, s[0:1], 0x0
	v_bfe_u32 v3, v0, 10, 10
	s_waitcnt lgkmcnt(0)
	s_lshr_b32 s2, s2, 16
	s_delay_alu instid0(VALU_DEP_1) | instid1(SALU_CYCLE_1)
	v_mad_u64_u32 v[1:2], null, s15, s2, v[3:4]
	s_mov_b32 s2, exec_lo
	s_delay_alu instid0(VALU_DEP_1)
	v_cmpx_gt_i32_e64 s3, v1
	s_cbranch_execz .LBB4_9
; %bb.1:
	s_clause 0x1
	s_load_b64 s[2:3], s[0:1], 0x8
	s_load_b64 s[4:5], s[0:1], 0x28
	v_ashrrev_i32_e32 v2, 31, v1
	v_dual_mov_b32 v7, 0 :: v_dual_and_b32 v0, 0x3ff, v0
	v_mov_b32_e32 v8, 0
	s_delay_alu instid0(VALU_DEP_3) | instskip(SKIP_1) | instid1(VALU_DEP_1)
	v_lshlrev_b64 v[3:4], 2, v[1:2]
	s_waitcnt lgkmcnt(0)
	v_add_co_u32 v3, vcc_lo, s2, v3
	s_delay_alu instid0(VALU_DEP_2) | instskip(SKIP_4) | instid1(VALU_DEP_1)
	v_add_co_ci_u32_e32 v4, vcc_lo, s3, v4, vcc_lo
	s_mov_b32 s3, exec_lo
	global_load_b64 v[3:4], v[3:4], off
	s_waitcnt vmcnt(0)
	v_add_nc_u32_e32 v5, v3, v0
	v_cmpx_lt_i32_e64 v5, v4
	s_cbranch_execz .LBB4_5
; %bb.2:
	s_clause 0x1
	s_load_b128 s[8:11], s[0:1], 0x10
	s_load_b64 s[6:7], s[0:1], 0x20
	v_ashrrev_i32_e32 v6, 31, v5
	v_mov_b32_e32 v7, 0
	v_mov_b32_e32 v8, 0
	s_delay_alu instid0(VALU_DEP_3) | instskip(SKIP_2) | instid1(VALU_DEP_2)
	v_lshlrev_b64 v[9:10], 3, v[5:6]
	v_lshlrev_b64 v[11:12], 2, v[5:6]
	s_waitcnt lgkmcnt(0)
	v_add_co_u32 v9, vcc_lo, s10, v9
	s_delay_alu instid0(VALU_DEP_3) | instskip(NEXT) | instid1(VALU_DEP_3)
	v_add_co_ci_u32_e32 v10, vcc_lo, s11, v10, vcc_lo
	v_add_co_u32 v11, vcc_lo, s8, v11
	s_delay_alu instid0(VALU_DEP_4)
	v_add_co_ci_u32_e32 v12, vcc_lo, s9, v12, vcc_lo
	s_mov_b32 s8, 0
	.p2align	6
.LBB4_3:                                ; =>This Inner Loop Header: Depth=1
	global_load_b32 v13, v[11:12], off
	v_add_nc_u32_e32 v5, 32, v5
	v_add_co_u32 v11, s2, 0x80, v11
	s_delay_alu instid0(VALU_DEP_1) | instskip(SKIP_2) | instid1(VALU_DEP_1)
	v_add_co_ci_u32_e64 v12, s2, 0, v12, s2
	s_waitcnt vmcnt(0)
	v_ashrrev_i32_e32 v14, 31, v13
	v_lshlrev_b64 v[13:14], 3, v[13:14]
	s_delay_alu instid0(VALU_DEP_1) | instskip(NEXT) | instid1(VALU_DEP_2)
	v_add_co_u32 v13, vcc_lo, s6, v13
	v_add_co_ci_u32_e32 v14, vcc_lo, s7, v14, vcc_lo
	global_load_b64 v[15:16], v[9:10], off
	global_load_b64 v[13:14], v[13:14], off
	v_add_co_u32 v9, vcc_lo, 0x100, v9
	v_add_co_ci_u32_e32 v10, vcc_lo, 0, v10, vcc_lo
	v_cmp_ge_i32_e32 vcc_lo, v5, v4
	s_or_b32 s8, vcc_lo, s8
	s_waitcnt vmcnt(0)
	v_mul_f64 v[13:14], v[15:16], v[13:14]
	s_delay_alu instid0(VALU_DEP_1)
	v_add_f64 v[7:8], v[7:8], v[13:14]
	s_and_not1_b32 exec_lo, exec_lo, s8
	s_cbranch_execnz .LBB4_3
; %bb.4:
	s_or_b32 exec_lo, exec_lo, s8
.LBB4_5:
	s_delay_alu instid0(SALU_CYCLE_1) | instskip(SKIP_1) | instid1(VALU_DEP_1)
	s_or_b32 exec_lo, exec_lo, s3
	v_mbcnt_lo_u32_b32 v9, -1, 0
	v_cmp_gt_u32_e32 vcc_lo, 16, v9
	v_cndmask_b32_e64 v3, 0, 1, vcc_lo
	v_cmp_gt_u32_e32 vcc_lo, 24, v9
	s_delay_alu instid0(VALU_DEP_2) | instskip(SKIP_2) | instid1(VALU_DEP_3)
	v_lshlrev_b32_e32 v3, 4, v3
	v_cndmask_b32_e64 v5, 0, 1, vcc_lo
	v_cmp_gt_u32_e32 vcc_lo, 28, v9
	v_add_lshl_u32 v4, v3, v9, 2
	s_delay_alu instid0(VALU_DEP_3)
	v_lshlrev_b32_e32 v5, 3, v5
	ds_bpermute_b32 v3, v4, v7
	ds_bpermute_b32 v4, v4, v8
	v_add_lshl_u32 v6, v5, v9, 2
	s_waitcnt lgkmcnt(0)
	v_add_f64 v[3:4], v[7:8], v[3:4]
	ds_bpermute_b32 v5, v6, v3
	ds_bpermute_b32 v6, v6, v4
	s_waitcnt lgkmcnt(0)
	v_add_f64 v[3:4], v[3:4], v[5:6]
	v_cndmask_b32_e64 v5, 0, 1, vcc_lo
	v_cmp_gt_u32_e32 vcc_lo, 30, v9
	s_delay_alu instid0(VALU_DEP_2) | instskip(NEXT) | instid1(VALU_DEP_1)
	v_lshlrev_b32_e32 v5, 2, v5
	v_add_lshl_u32 v6, v5, v9, 2
	ds_bpermute_b32 v5, v6, v3
	ds_bpermute_b32 v6, v6, v4
	s_waitcnt lgkmcnt(0)
	v_add_f64 v[3:4], v[3:4], v[5:6]
	v_cndmask_b32_e64 v5, 0, 1, vcc_lo
	v_cmp_ne_u32_e32 vcc_lo, 31, v9
	s_delay_alu instid0(VALU_DEP_2) | instskip(NEXT) | instid1(VALU_DEP_1)
	v_lshlrev_b32_e32 v5, 1, v5
	v_add_lshl_u32 v6, v5, v9, 2
	ds_bpermute_b32 v5, v6, v3
	ds_bpermute_b32 v6, v6, v4
	s_waitcnt lgkmcnt(0)
	v_add_f64 v[3:4], v[3:4], v[5:6]
	v_add_co_ci_u32_e32 v5, vcc_lo, 0, v9, vcc_lo
	v_cmp_eq_u32_e32 vcc_lo, 0, v0
	s_delay_alu instid0(VALU_DEP_2)
	v_lshlrev_b32_e32 v6, 2, v5
	ds_bpermute_b32 v5, v6, v3
	ds_bpermute_b32 v6, v6, v4
	s_and_b32 exec_lo, exec_lo, vcc_lo
	s_cbranch_execz .LBB4_9
; %bb.6:
	s_waitcnt lgkmcnt(0)
	v_add_f64 v[3:4], v[3:4], v[5:6]
	s_load_b128 s[0:3], s[0:1], 0x30
	v_lshlrev_b64 v[0:1], 3, v[1:2]
	s_delay_alu instid0(VALU_DEP_1) | instskip(NEXT) | instid1(VALU_DEP_2)
	v_add_co_u32 v0, vcc_lo, s4, v0
	v_add_co_ci_u32_e32 v1, vcc_lo, s5, v1, vcc_lo
	s_waitcnt lgkmcnt(0)
	v_cmp_eq_f64_e64 s6, s[2:3], 0
	v_mul_f64 v[3:4], v[3:4], s[0:1]
	s_delay_alu instid0(VALU_DEP_2)
	s_and_b32 vcc_lo, exec_lo, s6
	s_cbranch_vccnz .LBB4_8
; %bb.7:
	global_load_b64 v[5:6], v[0:1], off
	s_waitcnt vmcnt(0)
	v_fma_f64 v[3:4], v[5:6], s[2:3], v[3:4]
.LBB4_8:
	global_store_b64 v[0:1], v[3:4], off
.LBB4_9:
	s_nop 0
	s_sendmsg sendmsg(MSG_DEALLOC_VGPRS)
	s_endpgm
	.section	.rodata,"a",@progbits
	.p2align	6, 0x0
	.amdhsa_kernel _Z17vector_csr_kernelILi32EEviPKiS1_PKdS3_Pddd
		.amdhsa_group_segment_fixed_size 0
		.amdhsa_private_segment_fixed_size 0
		.amdhsa_kernarg_size 320
		.amdhsa_user_sgpr_count 15
		.amdhsa_user_sgpr_dispatch_ptr 0
		.amdhsa_user_sgpr_queue_ptr 0
		.amdhsa_user_sgpr_kernarg_segment_ptr 1
		.amdhsa_user_sgpr_dispatch_id 0
		.amdhsa_user_sgpr_private_segment_size 0
		.amdhsa_wavefront_size32 1
		.amdhsa_uses_dynamic_stack 0
		.amdhsa_enable_private_segment 0
		.amdhsa_system_sgpr_workgroup_id_x 1
		.amdhsa_system_sgpr_workgroup_id_y 0
		.amdhsa_system_sgpr_workgroup_id_z 0
		.amdhsa_system_sgpr_workgroup_info 0
		.amdhsa_system_vgpr_workitem_id 1
		.amdhsa_next_free_vgpr 17
		.amdhsa_next_free_sgpr 16
		.amdhsa_reserve_vcc 1
		.amdhsa_float_round_mode_32 0
		.amdhsa_float_round_mode_16_64 0
		.amdhsa_float_denorm_mode_32 3
		.amdhsa_float_denorm_mode_16_64 3
		.amdhsa_dx10_clamp 1
		.amdhsa_ieee_mode 1
		.amdhsa_fp16_overflow 0
		.amdhsa_workgroup_processor_mode 1
		.amdhsa_memory_ordered 1
		.amdhsa_forward_progress 0
		.amdhsa_shared_vgpr_count 0
		.amdhsa_exception_fp_ieee_invalid_op 0
		.amdhsa_exception_fp_denorm_src 0
		.amdhsa_exception_fp_ieee_div_zero 0
		.amdhsa_exception_fp_ieee_overflow 0
		.amdhsa_exception_fp_ieee_underflow 0
		.amdhsa_exception_fp_ieee_inexact 0
		.amdhsa_exception_int_div_zero 0
	.end_amdhsa_kernel
	.section	.text._Z17vector_csr_kernelILi32EEviPKiS1_PKdS3_Pddd,"axG",@progbits,_Z17vector_csr_kernelILi32EEviPKiS1_PKdS3_Pddd,comdat
.Lfunc_end4:
	.size	_Z17vector_csr_kernelILi32EEviPKiS1_PKdS3_Pddd, .Lfunc_end4-_Z17vector_csr_kernelILi32EEviPKiS1_PKdS3_Pddd
                                        ; -- End function
	.section	.AMDGPU.csdata,"",@progbits
; Kernel info:
; codeLenInByte = 808
; NumSgprs: 18
; NumVgprs: 17
; ScratchSize: 0
; MemoryBound: 0
; FloatMode: 240
; IeeeMode: 1
; LDSByteSize: 0 bytes/workgroup (compile time only)
; SGPRBlocks: 2
; VGPRBlocks: 2
; NumSGPRsForWavesPerEU: 18
; NumVGPRsForWavesPerEU: 17
; Occupancy: 16
; WaveLimiterHint : 1
; COMPUTE_PGM_RSRC2:SCRATCH_EN: 0
; COMPUTE_PGM_RSRC2:USER_SGPR: 15
; COMPUTE_PGM_RSRC2:TRAP_HANDLER: 0
; COMPUTE_PGM_RSRC2:TGID_X_EN: 1
; COMPUTE_PGM_RSRC2:TGID_Y_EN: 0
; COMPUTE_PGM_RSRC2:TGID_Z_EN: 0
; COMPUTE_PGM_RSRC2:TIDIG_COMP_CNT: 1
	.section	.text._Z17vector_csr_kernelILi64EEviPKiS1_PKdS3_Pddd,"axG",@progbits,_Z17vector_csr_kernelILi64EEviPKiS1_PKdS3_Pddd,comdat
	.protected	_Z17vector_csr_kernelILi64EEviPKiS1_PKdS3_Pddd ; -- Begin function _Z17vector_csr_kernelILi64EEviPKiS1_PKdS3_Pddd
	.globl	_Z17vector_csr_kernelILi64EEviPKiS1_PKdS3_Pddd
	.p2align	8
	.type	_Z17vector_csr_kernelILi64EEviPKiS1_PKdS3_Pddd,@function
_Z17vector_csr_kernelILi64EEviPKiS1_PKdS3_Pddd: ; @_Z17vector_csr_kernelILi64EEviPKiS1_PKdS3_Pddd
; %bb.0:
	s_clause 0x1
	s_load_b32 s2, s[0:1], 0x4c
	s_load_b32 s3, s[0:1], 0x0
	v_bfe_u32 v3, v0, 10, 10
	s_waitcnt lgkmcnt(0)
	s_lshr_b32 s2, s2, 16
	s_delay_alu instid0(VALU_DEP_1) | instid1(SALU_CYCLE_1)
	v_mad_u64_u32 v[1:2], null, s15, s2, v[3:4]
	s_mov_b32 s2, exec_lo
	s_delay_alu instid0(VALU_DEP_1)
	v_cmpx_gt_i32_e64 s3, v1
	s_cbranch_execz .LBB5_9
; %bb.1:
	s_clause 0x1
	s_load_b64 s[2:3], s[0:1], 0x8
	s_load_b64 s[4:5], s[0:1], 0x28
	v_ashrrev_i32_e32 v2, 31, v1
	v_dual_mov_b32 v7, 0 :: v_dual_and_b32 v0, 0x3ff, v0
	v_mov_b32_e32 v8, 0
	s_delay_alu instid0(VALU_DEP_3) | instskip(SKIP_1) | instid1(VALU_DEP_1)
	v_lshlrev_b64 v[3:4], 2, v[1:2]
	s_waitcnt lgkmcnt(0)
	v_add_co_u32 v3, vcc_lo, s2, v3
	s_delay_alu instid0(VALU_DEP_2) | instskip(SKIP_4) | instid1(VALU_DEP_1)
	v_add_co_ci_u32_e32 v4, vcc_lo, s3, v4, vcc_lo
	s_mov_b32 s3, exec_lo
	global_load_b64 v[3:4], v[3:4], off
	s_waitcnt vmcnt(0)
	v_add_nc_u32_e32 v5, v3, v0
	v_cmpx_lt_i32_e64 v5, v4
	s_cbranch_execz .LBB5_5
; %bb.2:
	s_clause 0x1
	s_load_b128 s[8:11], s[0:1], 0x10
	s_load_b64 s[6:7], s[0:1], 0x20
	v_ashrrev_i32_e32 v6, 31, v5
	v_mov_b32_e32 v7, 0
	v_mov_b32_e32 v8, 0
	s_delay_alu instid0(VALU_DEP_3) | instskip(SKIP_2) | instid1(VALU_DEP_2)
	v_lshlrev_b64 v[9:10], 3, v[5:6]
	v_lshlrev_b64 v[11:12], 2, v[5:6]
	s_waitcnt lgkmcnt(0)
	v_add_co_u32 v9, vcc_lo, s10, v9
	s_delay_alu instid0(VALU_DEP_3) | instskip(NEXT) | instid1(VALU_DEP_3)
	v_add_co_ci_u32_e32 v10, vcc_lo, s11, v10, vcc_lo
	v_add_co_u32 v11, vcc_lo, s8, v11
	s_delay_alu instid0(VALU_DEP_4)
	v_add_co_ci_u32_e32 v12, vcc_lo, s9, v12, vcc_lo
	s_mov_b32 s8, 0
	.p2align	6
.LBB5_3:                                ; =>This Inner Loop Header: Depth=1
	global_load_b32 v13, v[11:12], off
	v_add_nc_u32_e32 v5, 64, v5
	v_add_co_u32 v11, s2, 0x100, v11
	s_delay_alu instid0(VALU_DEP_1) | instskip(SKIP_2) | instid1(VALU_DEP_1)
	v_add_co_ci_u32_e64 v12, s2, 0, v12, s2
	s_waitcnt vmcnt(0)
	v_ashrrev_i32_e32 v14, 31, v13
	v_lshlrev_b64 v[13:14], 3, v[13:14]
	s_delay_alu instid0(VALU_DEP_1) | instskip(NEXT) | instid1(VALU_DEP_2)
	v_add_co_u32 v13, vcc_lo, s6, v13
	v_add_co_ci_u32_e32 v14, vcc_lo, s7, v14, vcc_lo
	global_load_b64 v[15:16], v[9:10], off
	global_load_b64 v[13:14], v[13:14], off
	v_add_co_u32 v9, vcc_lo, 0x200, v9
	v_add_co_ci_u32_e32 v10, vcc_lo, 0, v10, vcc_lo
	v_cmp_ge_i32_e32 vcc_lo, v5, v4
	s_or_b32 s8, vcc_lo, s8
	s_waitcnt vmcnt(0)
	v_mul_f64 v[13:14], v[15:16], v[13:14]
	s_delay_alu instid0(VALU_DEP_1)
	v_add_f64 v[7:8], v[7:8], v[13:14]
	s_and_not1_b32 exec_lo, exec_lo, s8
	s_cbranch_execnz .LBB5_3
; %bb.4:
	s_or_b32 exec_lo, exec_lo, s8
.LBB5_5:
	s_delay_alu instid0(SALU_CYCLE_1) | instskip(SKIP_1) | instid1(VALU_DEP_1)
	s_or_b32 exec_lo, exec_lo, s3
	v_mbcnt_lo_u32_b32 v9, -1, 0
	v_cmp_gt_u32_e32 vcc_lo, 32, v9
	v_lshlrev_b32_e32 v3, 2, v9
	v_cndmask_b32_e64 v4, 0, 1, vcc_lo
	v_cmp_gt_u32_e32 vcc_lo, 48, v9
	s_delay_alu instid0(VALU_DEP_2)
	v_lshl_or_b32 v4, v4, 7, v3
	v_cndmask_b32_e64 v5, 0, 1, vcc_lo
	v_cmp_gt_u32_e32 vcc_lo, 56, v9
	ds_bpermute_b32 v3, v4, v7
	ds_bpermute_b32 v4, v4, v8
	v_lshlrev_b32_e32 v5, 4, v5
	s_delay_alu instid0(VALU_DEP_1)
	v_add_lshl_u32 v6, v5, v9, 2
	s_waitcnt lgkmcnt(0)
	v_add_f64 v[3:4], v[7:8], v[3:4]
	ds_bpermute_b32 v5, v6, v3
	ds_bpermute_b32 v6, v6, v4
	s_waitcnt lgkmcnt(0)
	v_add_f64 v[3:4], v[3:4], v[5:6]
	v_cndmask_b32_e64 v5, 0, 1, vcc_lo
	v_cmp_gt_u32_e32 vcc_lo, 60, v9
	s_delay_alu instid0(VALU_DEP_2) | instskip(NEXT) | instid1(VALU_DEP_1)
	v_lshlrev_b32_e32 v5, 3, v5
	v_add_lshl_u32 v6, v5, v9, 2
	ds_bpermute_b32 v5, v6, v3
	ds_bpermute_b32 v6, v6, v4
	s_waitcnt lgkmcnt(0)
	v_add_f64 v[3:4], v[3:4], v[5:6]
	v_cndmask_b32_e64 v5, 0, 1, vcc_lo
	v_cmp_gt_u32_e32 vcc_lo, 62, v9
	s_delay_alu instid0(VALU_DEP_2) | instskip(NEXT) | instid1(VALU_DEP_1)
	v_lshlrev_b32_e32 v5, 2, v5
	v_add_lshl_u32 v6, v5, v9, 2
	ds_bpermute_b32 v5, v6, v3
	ds_bpermute_b32 v6, v6, v4
	s_waitcnt lgkmcnt(0)
	v_add_f64 v[3:4], v[3:4], v[5:6]
	v_cndmask_b32_e64 v5, 0, 1, vcc_lo
	v_cmp_ne_u32_e32 vcc_lo, 63, v9
	s_delay_alu instid0(VALU_DEP_2) | instskip(NEXT) | instid1(VALU_DEP_1)
	v_lshlrev_b32_e32 v5, 1, v5
	v_add_lshl_u32 v6, v5, v9, 2
	ds_bpermute_b32 v5, v6, v3
	ds_bpermute_b32 v6, v6, v4
	s_waitcnt lgkmcnt(0)
	v_add_f64 v[3:4], v[3:4], v[5:6]
	v_add_co_ci_u32_e32 v5, vcc_lo, 0, v9, vcc_lo
	v_cmp_eq_u32_e32 vcc_lo, 0, v0
	s_delay_alu instid0(VALU_DEP_2)
	v_lshlrev_b32_e32 v6, 2, v5
	ds_bpermute_b32 v5, v6, v3
	ds_bpermute_b32 v6, v6, v4
	s_and_b32 exec_lo, exec_lo, vcc_lo
	s_cbranch_execz .LBB5_9
; %bb.6:
	s_waitcnt lgkmcnt(0)
	v_add_f64 v[3:4], v[3:4], v[5:6]
	s_load_b128 s[0:3], s[0:1], 0x30
	v_lshlrev_b64 v[0:1], 3, v[1:2]
	s_delay_alu instid0(VALU_DEP_1) | instskip(NEXT) | instid1(VALU_DEP_2)
	v_add_co_u32 v0, vcc_lo, s4, v0
	v_add_co_ci_u32_e32 v1, vcc_lo, s5, v1, vcc_lo
	s_waitcnt lgkmcnt(0)
	v_cmp_eq_f64_e64 s6, s[2:3], 0
	v_mul_f64 v[3:4], v[3:4], s[0:1]
	s_delay_alu instid0(VALU_DEP_2)
	s_and_b32 vcc_lo, exec_lo, s6
	s_cbranch_vccnz .LBB5_8
; %bb.7:
	global_load_b64 v[5:6], v[0:1], off
	s_waitcnt vmcnt(0)
	v_fma_f64 v[3:4], v[5:6], s[2:3], v[3:4]
.LBB5_8:
	global_store_b64 v[0:1], v[3:4], off
.LBB5_9:
	s_nop 0
	s_sendmsg sendmsg(MSG_DEALLOC_VGPRS)
	s_endpgm
	.section	.rodata,"a",@progbits
	.p2align	6, 0x0
	.amdhsa_kernel _Z17vector_csr_kernelILi64EEviPKiS1_PKdS3_Pddd
		.amdhsa_group_segment_fixed_size 0
		.amdhsa_private_segment_fixed_size 0
		.amdhsa_kernarg_size 320
		.amdhsa_user_sgpr_count 15
		.amdhsa_user_sgpr_dispatch_ptr 0
		.amdhsa_user_sgpr_queue_ptr 0
		.amdhsa_user_sgpr_kernarg_segment_ptr 1
		.amdhsa_user_sgpr_dispatch_id 0
		.amdhsa_user_sgpr_private_segment_size 0
		.amdhsa_wavefront_size32 1
		.amdhsa_uses_dynamic_stack 0
		.amdhsa_enable_private_segment 0
		.amdhsa_system_sgpr_workgroup_id_x 1
		.amdhsa_system_sgpr_workgroup_id_y 0
		.amdhsa_system_sgpr_workgroup_id_z 0
		.amdhsa_system_sgpr_workgroup_info 0
		.amdhsa_system_vgpr_workitem_id 1
		.amdhsa_next_free_vgpr 17
		.amdhsa_next_free_sgpr 16
		.amdhsa_reserve_vcc 1
		.amdhsa_float_round_mode_32 0
		.amdhsa_float_round_mode_16_64 0
		.amdhsa_float_denorm_mode_32 3
		.amdhsa_float_denorm_mode_16_64 3
		.amdhsa_dx10_clamp 1
		.amdhsa_ieee_mode 1
		.amdhsa_fp16_overflow 0
		.amdhsa_workgroup_processor_mode 1
		.amdhsa_memory_ordered 1
		.amdhsa_forward_progress 0
		.amdhsa_shared_vgpr_count 0
		.amdhsa_exception_fp_ieee_invalid_op 0
		.amdhsa_exception_fp_denorm_src 0
		.amdhsa_exception_fp_ieee_div_zero 0
		.amdhsa_exception_fp_ieee_overflow 0
		.amdhsa_exception_fp_ieee_underflow 0
		.amdhsa_exception_fp_ieee_inexact 0
		.amdhsa_exception_int_div_zero 0
	.end_amdhsa_kernel
	.section	.text._Z17vector_csr_kernelILi64EEviPKiS1_PKdS3_Pddd,"axG",@progbits,_Z17vector_csr_kernelILi64EEviPKiS1_PKdS3_Pddd,comdat
.Lfunc_end5:
	.size	_Z17vector_csr_kernelILi64EEviPKiS1_PKdS3_Pddd, .Lfunc_end5-_Z17vector_csr_kernelILi64EEviPKiS1_PKdS3_Pddd
                                        ; -- End function
	.section	.AMDGPU.csdata,"",@progbits
; Kernel info:
; codeLenInByte = 864
; NumSgprs: 18
; NumVgprs: 17
; ScratchSize: 0
; MemoryBound: 0
; FloatMode: 240
; IeeeMode: 1
; LDSByteSize: 0 bytes/workgroup (compile time only)
; SGPRBlocks: 2
; VGPRBlocks: 2
; NumSGPRsForWavesPerEU: 18
; NumVGPRsForWavesPerEU: 17
; Occupancy: 16
; WaveLimiterHint : 1
; COMPUTE_PGM_RSRC2:SCRATCH_EN: 0
; COMPUTE_PGM_RSRC2:USER_SGPR: 15
; COMPUTE_PGM_RSRC2:TRAP_HANDLER: 0
; COMPUTE_PGM_RSRC2:TGID_X_EN: 1
; COMPUTE_PGM_RSRC2:TGID_Y_EN: 0
; COMPUTE_PGM_RSRC2:TGID_Z_EN: 0
; COMPUTE_PGM_RSRC2:TIDIG_COMP_CNT: 1
	.text
	.p2alignl 7, 3214868480
	.fill 96, 4, 3214868480
	.type	__hip_cuid_cd13ec6c55991759,@object ; @__hip_cuid_cd13ec6c55991759
	.section	.bss,"aw",@nobits
	.globl	__hip_cuid_cd13ec6c55991759
__hip_cuid_cd13ec6c55991759:
	.byte	0                               ; 0x0
	.size	__hip_cuid_cd13ec6c55991759, 1

	.ident	"AMD clang version 19.0.0git (https://github.com/RadeonOpenCompute/llvm-project roc-6.4.0 25133 c7fe45cf4b819c5991fe208aaa96edf142730f1d)"
	.section	".note.GNU-stack","",@progbits
	.addrsig
	.addrsig_sym __hip_cuid_cd13ec6c55991759
	.amdgpu_metadata
---
amdhsa.kernels:
  - .args:
      - .offset:         0
        .size:           4
        .value_kind:     by_value
      - .actual_access:  read_only
        .address_space:  global
        .offset:         8
        .size:           8
        .value_kind:     global_buffer
      - .actual_access:  read_only
        .address_space:  global
        .offset:         16
        .size:           8
        .value_kind:     global_buffer
      - .actual_access:  read_only
        .address_space:  global
        .offset:         24
        .size:           8
        .value_kind:     global_buffer
      - .actual_access:  read_only
        .address_space:  global
        .offset:         32
        .size:           8
        .value_kind:     global_buffer
      - .address_space:  global
        .offset:         40
        .size:           8
        .value_kind:     global_buffer
      - .offset:         48
        .size:           8
        .value_kind:     by_value
      - .offset:         56
        .size:           8
        .value_kind:     by_value
      - .offset:         64
        .size:           4
        .value_kind:     hidden_block_count_x
      - .offset:         68
        .size:           4
        .value_kind:     hidden_block_count_y
      - .offset:         72
        .size:           4
        .value_kind:     hidden_block_count_z
      - .offset:         76
        .size:           2
        .value_kind:     hidden_group_size_x
      - .offset:         78
        .size:           2
        .value_kind:     hidden_group_size_y
      - .offset:         80
        .size:           2
        .value_kind:     hidden_group_size_z
      - .offset:         82
        .size:           2
        .value_kind:     hidden_remainder_x
      - .offset:         84
        .size:           2
        .value_kind:     hidden_remainder_y
      - .offset:         86
        .size:           2
        .value_kind:     hidden_remainder_z
      - .offset:         104
        .size:           8
        .value_kind:     hidden_global_offset_x
      - .offset:         112
        .size:           8
        .value_kind:     hidden_global_offset_y
      - .offset:         120
        .size:           8
        .value_kind:     hidden_global_offset_z
      - .offset:         128
        .size:           2
        .value_kind:     hidden_grid_dims
    .group_segment_fixed_size: 0
    .kernarg_segment_align: 8
    .kernarg_segment_size: 320
    .language:       OpenCL C
    .language_version:
      - 2
      - 0
    .max_flat_workgroup_size: 1024
    .name:           _Z17vector_csr_kernelILi2EEviPKiS1_PKdS3_Pddd
    .private_segment_fixed_size: 0
    .sgpr_count:     18
    .sgpr_spill_count: 0
    .symbol:         _Z17vector_csr_kernelILi2EEviPKiS1_PKdS3_Pddd.kd
    .uniform_work_group_size: 1
    .uses_dynamic_stack: false
    .vgpr_count:     15
    .vgpr_spill_count: 0
    .wavefront_size: 32
    .workgroup_processor_mode: 1
  - .args:
      - .offset:         0
        .size:           4
        .value_kind:     by_value
      - .actual_access:  read_only
        .address_space:  global
        .offset:         8
        .size:           8
        .value_kind:     global_buffer
      - .actual_access:  read_only
        .address_space:  global
        .offset:         16
        .size:           8
        .value_kind:     global_buffer
      - .actual_access:  read_only
        .address_space:  global
        .offset:         24
        .size:           8
        .value_kind:     global_buffer
      - .actual_access:  read_only
        .address_space:  global
        .offset:         32
        .size:           8
        .value_kind:     global_buffer
      - .address_space:  global
        .offset:         40
        .size:           8
        .value_kind:     global_buffer
      - .offset:         48
        .size:           8
        .value_kind:     by_value
      - .offset:         56
        .size:           8
        .value_kind:     by_value
      - .offset:         64
        .size:           4
        .value_kind:     hidden_block_count_x
      - .offset:         68
        .size:           4
        .value_kind:     hidden_block_count_y
      - .offset:         72
        .size:           4
        .value_kind:     hidden_block_count_z
      - .offset:         76
        .size:           2
        .value_kind:     hidden_group_size_x
      - .offset:         78
        .size:           2
        .value_kind:     hidden_group_size_y
      - .offset:         80
        .size:           2
        .value_kind:     hidden_group_size_z
      - .offset:         82
        .size:           2
        .value_kind:     hidden_remainder_x
      - .offset:         84
        .size:           2
        .value_kind:     hidden_remainder_y
      - .offset:         86
        .size:           2
        .value_kind:     hidden_remainder_z
      - .offset:         104
        .size:           8
        .value_kind:     hidden_global_offset_x
      - .offset:         112
        .size:           8
        .value_kind:     hidden_global_offset_y
      - .offset:         120
        .size:           8
        .value_kind:     hidden_global_offset_z
      - .offset:         128
        .size:           2
        .value_kind:     hidden_grid_dims
    .group_segment_fixed_size: 0
    .kernarg_segment_align: 8
    .kernarg_segment_size: 320
    .language:       OpenCL C
    .language_version:
      - 2
      - 0
    .max_flat_workgroup_size: 1024
    .name:           _Z17vector_csr_kernelILi4EEviPKiS1_PKdS3_Pddd
    .private_segment_fixed_size: 0
    .sgpr_count:     18
    .sgpr_spill_count: 0
    .symbol:         _Z17vector_csr_kernelILi4EEviPKiS1_PKdS3_Pddd.kd
    .uniform_work_group_size: 1
    .uses_dynamic_stack: false
    .vgpr_count:     17
    .vgpr_spill_count: 0
    .wavefront_size: 32
    .workgroup_processor_mode: 1
  - .args:
      - .offset:         0
        .size:           4
        .value_kind:     by_value
      - .actual_access:  read_only
        .address_space:  global
        .offset:         8
        .size:           8
        .value_kind:     global_buffer
      - .actual_access:  read_only
        .address_space:  global
        .offset:         16
        .size:           8
        .value_kind:     global_buffer
      - .actual_access:  read_only
        .address_space:  global
        .offset:         24
        .size:           8
        .value_kind:     global_buffer
      - .actual_access:  read_only
        .address_space:  global
        .offset:         32
        .size:           8
        .value_kind:     global_buffer
      - .address_space:  global
        .offset:         40
        .size:           8
        .value_kind:     global_buffer
      - .offset:         48
        .size:           8
        .value_kind:     by_value
      - .offset:         56
        .size:           8
        .value_kind:     by_value
      - .offset:         64
        .size:           4
        .value_kind:     hidden_block_count_x
      - .offset:         68
        .size:           4
        .value_kind:     hidden_block_count_y
      - .offset:         72
        .size:           4
        .value_kind:     hidden_block_count_z
      - .offset:         76
        .size:           2
        .value_kind:     hidden_group_size_x
      - .offset:         78
        .size:           2
        .value_kind:     hidden_group_size_y
      - .offset:         80
        .size:           2
        .value_kind:     hidden_group_size_z
      - .offset:         82
        .size:           2
        .value_kind:     hidden_remainder_x
      - .offset:         84
        .size:           2
        .value_kind:     hidden_remainder_y
      - .offset:         86
        .size:           2
        .value_kind:     hidden_remainder_z
      - .offset:         104
        .size:           8
        .value_kind:     hidden_global_offset_x
      - .offset:         112
        .size:           8
        .value_kind:     hidden_global_offset_y
      - .offset:         120
        .size:           8
        .value_kind:     hidden_global_offset_z
      - .offset:         128
        .size:           2
        .value_kind:     hidden_grid_dims
    .group_segment_fixed_size: 0
    .kernarg_segment_align: 8
    .kernarg_segment_size: 320
    .language:       OpenCL C
    .language_version:
      - 2
      - 0
    .max_flat_workgroup_size: 1024
    .name:           _Z17vector_csr_kernelILi8EEviPKiS1_PKdS3_Pddd
    .private_segment_fixed_size: 0
    .sgpr_count:     18
    .sgpr_spill_count: 0
    .symbol:         _Z17vector_csr_kernelILi8EEviPKiS1_PKdS3_Pddd.kd
    .uniform_work_group_size: 1
    .uses_dynamic_stack: false
    .vgpr_count:     17
    .vgpr_spill_count: 0
    .wavefront_size: 32
    .workgroup_processor_mode: 1
  - .args:
      - .offset:         0
        .size:           4
        .value_kind:     by_value
      - .actual_access:  read_only
        .address_space:  global
        .offset:         8
        .size:           8
        .value_kind:     global_buffer
      - .actual_access:  read_only
        .address_space:  global
        .offset:         16
        .size:           8
        .value_kind:     global_buffer
      - .actual_access:  read_only
        .address_space:  global
        .offset:         24
        .size:           8
        .value_kind:     global_buffer
      - .actual_access:  read_only
        .address_space:  global
        .offset:         32
        .size:           8
        .value_kind:     global_buffer
      - .address_space:  global
        .offset:         40
        .size:           8
        .value_kind:     global_buffer
      - .offset:         48
        .size:           8
        .value_kind:     by_value
      - .offset:         56
        .size:           8
        .value_kind:     by_value
      - .offset:         64
        .size:           4
        .value_kind:     hidden_block_count_x
      - .offset:         68
        .size:           4
        .value_kind:     hidden_block_count_y
      - .offset:         72
        .size:           4
        .value_kind:     hidden_block_count_z
      - .offset:         76
        .size:           2
        .value_kind:     hidden_group_size_x
      - .offset:         78
        .size:           2
        .value_kind:     hidden_group_size_y
      - .offset:         80
        .size:           2
        .value_kind:     hidden_group_size_z
      - .offset:         82
        .size:           2
        .value_kind:     hidden_remainder_x
      - .offset:         84
        .size:           2
        .value_kind:     hidden_remainder_y
      - .offset:         86
        .size:           2
        .value_kind:     hidden_remainder_z
      - .offset:         104
        .size:           8
        .value_kind:     hidden_global_offset_x
      - .offset:         112
        .size:           8
        .value_kind:     hidden_global_offset_y
      - .offset:         120
        .size:           8
        .value_kind:     hidden_global_offset_z
      - .offset:         128
        .size:           2
        .value_kind:     hidden_grid_dims
    .group_segment_fixed_size: 0
    .kernarg_segment_align: 8
    .kernarg_segment_size: 320
    .language:       OpenCL C
    .language_version:
      - 2
      - 0
    .max_flat_workgroup_size: 1024
    .name:           _Z17vector_csr_kernelILi16EEviPKiS1_PKdS3_Pddd
    .private_segment_fixed_size: 0
    .sgpr_count:     18
    .sgpr_spill_count: 0
    .symbol:         _Z17vector_csr_kernelILi16EEviPKiS1_PKdS3_Pddd.kd
    .uniform_work_group_size: 1
    .uses_dynamic_stack: false
    .vgpr_count:     17
    .vgpr_spill_count: 0
    .wavefront_size: 32
    .workgroup_processor_mode: 1
  - .args:
      - .offset:         0
        .size:           4
        .value_kind:     by_value
      - .actual_access:  read_only
        .address_space:  global
        .offset:         8
        .size:           8
        .value_kind:     global_buffer
      - .actual_access:  read_only
        .address_space:  global
        .offset:         16
        .size:           8
        .value_kind:     global_buffer
      - .actual_access:  read_only
        .address_space:  global
        .offset:         24
        .size:           8
        .value_kind:     global_buffer
      - .actual_access:  read_only
        .address_space:  global
        .offset:         32
        .size:           8
        .value_kind:     global_buffer
      - .address_space:  global
        .offset:         40
        .size:           8
        .value_kind:     global_buffer
      - .offset:         48
        .size:           8
        .value_kind:     by_value
      - .offset:         56
        .size:           8
        .value_kind:     by_value
      - .offset:         64
        .size:           4
        .value_kind:     hidden_block_count_x
      - .offset:         68
        .size:           4
        .value_kind:     hidden_block_count_y
      - .offset:         72
        .size:           4
        .value_kind:     hidden_block_count_z
      - .offset:         76
        .size:           2
        .value_kind:     hidden_group_size_x
      - .offset:         78
        .size:           2
        .value_kind:     hidden_group_size_y
      - .offset:         80
        .size:           2
        .value_kind:     hidden_group_size_z
      - .offset:         82
        .size:           2
        .value_kind:     hidden_remainder_x
      - .offset:         84
        .size:           2
        .value_kind:     hidden_remainder_y
      - .offset:         86
        .size:           2
        .value_kind:     hidden_remainder_z
      - .offset:         104
        .size:           8
        .value_kind:     hidden_global_offset_x
      - .offset:         112
        .size:           8
        .value_kind:     hidden_global_offset_y
      - .offset:         120
        .size:           8
        .value_kind:     hidden_global_offset_z
      - .offset:         128
        .size:           2
        .value_kind:     hidden_grid_dims
    .group_segment_fixed_size: 0
    .kernarg_segment_align: 8
    .kernarg_segment_size: 320
    .language:       OpenCL C
    .language_version:
      - 2
      - 0
    .max_flat_workgroup_size: 1024
    .name:           _Z17vector_csr_kernelILi32EEviPKiS1_PKdS3_Pddd
    .private_segment_fixed_size: 0
    .sgpr_count:     18
    .sgpr_spill_count: 0
    .symbol:         _Z17vector_csr_kernelILi32EEviPKiS1_PKdS3_Pddd.kd
    .uniform_work_group_size: 1
    .uses_dynamic_stack: false
    .vgpr_count:     17
    .vgpr_spill_count: 0
    .wavefront_size: 32
    .workgroup_processor_mode: 1
  - .args:
      - .offset:         0
        .size:           4
        .value_kind:     by_value
      - .actual_access:  read_only
        .address_space:  global
        .offset:         8
        .size:           8
        .value_kind:     global_buffer
      - .actual_access:  read_only
        .address_space:  global
        .offset:         16
        .size:           8
        .value_kind:     global_buffer
      - .actual_access:  read_only
        .address_space:  global
        .offset:         24
        .size:           8
        .value_kind:     global_buffer
      - .actual_access:  read_only
        .address_space:  global
        .offset:         32
        .size:           8
        .value_kind:     global_buffer
      - .address_space:  global
        .offset:         40
        .size:           8
        .value_kind:     global_buffer
      - .offset:         48
        .size:           8
        .value_kind:     by_value
      - .offset:         56
        .size:           8
        .value_kind:     by_value
      - .offset:         64
        .size:           4
        .value_kind:     hidden_block_count_x
      - .offset:         68
        .size:           4
        .value_kind:     hidden_block_count_y
      - .offset:         72
        .size:           4
        .value_kind:     hidden_block_count_z
      - .offset:         76
        .size:           2
        .value_kind:     hidden_group_size_x
      - .offset:         78
        .size:           2
        .value_kind:     hidden_group_size_y
      - .offset:         80
        .size:           2
        .value_kind:     hidden_group_size_z
      - .offset:         82
        .size:           2
        .value_kind:     hidden_remainder_x
      - .offset:         84
        .size:           2
        .value_kind:     hidden_remainder_y
      - .offset:         86
        .size:           2
        .value_kind:     hidden_remainder_z
      - .offset:         104
        .size:           8
        .value_kind:     hidden_global_offset_x
      - .offset:         112
        .size:           8
        .value_kind:     hidden_global_offset_y
      - .offset:         120
        .size:           8
        .value_kind:     hidden_global_offset_z
      - .offset:         128
        .size:           2
        .value_kind:     hidden_grid_dims
    .group_segment_fixed_size: 0
    .kernarg_segment_align: 8
    .kernarg_segment_size: 320
    .language:       OpenCL C
    .language_version:
      - 2
      - 0
    .max_flat_workgroup_size: 1024
    .name:           _Z17vector_csr_kernelILi64EEviPKiS1_PKdS3_Pddd
    .private_segment_fixed_size: 0
    .sgpr_count:     18
    .sgpr_spill_count: 0
    .symbol:         _Z17vector_csr_kernelILi64EEviPKiS1_PKdS3_Pddd.kd
    .uniform_work_group_size: 1
    .uses_dynamic_stack: false
    .vgpr_count:     17
    .vgpr_spill_count: 0
    .wavefront_size: 32
    .workgroup_processor_mode: 1
amdhsa.target:   amdgcn-amd-amdhsa--gfx1100
amdhsa.version:
  - 1
  - 2
...

	.end_amdgpu_metadata
